;; amdgpu-corpus repo=ROCm/rocFFT kind=compiled arch=gfx906 opt=O3
	.text
	.amdgcn_target "amdgcn-amd-amdhsa--gfx906"
	.amdhsa_code_object_version 6
	.protected	fft_rtc_fwd_len1050_factors_2_3_5_5_7_wgs_210_tpt_210_half_ip_CI_unitstride_sbrr_C2R_dirReg ; -- Begin function fft_rtc_fwd_len1050_factors_2_3_5_5_7_wgs_210_tpt_210_half_ip_CI_unitstride_sbrr_C2R_dirReg
	.globl	fft_rtc_fwd_len1050_factors_2_3_5_5_7_wgs_210_tpt_210_half_ip_CI_unitstride_sbrr_C2R_dirReg
	.p2align	8
	.type	fft_rtc_fwd_len1050_factors_2_3_5_5_7_wgs_210_tpt_210_half_ip_CI_unitstride_sbrr_C2R_dirReg,@function
fft_rtc_fwd_len1050_factors_2_3_5_5_7_wgs_210_tpt_210_half_ip_CI_unitstride_sbrr_C2R_dirReg: ; @fft_rtc_fwd_len1050_factors_2_3_5_5_7_wgs_210_tpt_210_half_ip_CI_unitstride_sbrr_C2R_dirReg
; %bb.0:
	s_load_dwordx2 s[2:3], s[4:5], 0x50
	s_load_dwordx4 s[8:11], s[4:5], 0x0
	s_load_dwordx2 s[12:13], s[4:5], 0x18
	v_mul_u32_u24_e32 v1, 0x139, v0
	v_add_u32_sdwa v5, s6, v1 dst_sel:DWORD dst_unused:UNUSED_PAD src0_sel:DWORD src1_sel:WORD_1
	v_mov_b32_e32 v3, 0
	s_waitcnt lgkmcnt(0)
	v_cmp_lt_u64_e64 s[0:1], s[10:11], 2
	v_mov_b32_e32 v1, 0
	v_mov_b32_e32 v6, v3
	s_and_b64 vcc, exec, s[0:1]
	v_mov_b32_e32 v2, 0
	s_cbranch_vccnz .LBB0_8
; %bb.1:
	s_load_dwordx2 s[0:1], s[4:5], 0x10
	s_add_u32 s6, s12, 8
	s_addc_u32 s7, s13, 0
	v_mov_b32_e32 v1, 0
	v_mov_b32_e32 v2, 0
	s_waitcnt lgkmcnt(0)
	s_add_u32 s14, s0, 8
	s_addc_u32 s15, s1, 0
	s_mov_b64 s[16:17], 1
.LBB0_2:                                ; =>This Inner Loop Header: Depth=1
	s_load_dwordx2 s[18:19], s[14:15], 0x0
                                        ; implicit-def: $vgpr7_vgpr8
	s_waitcnt lgkmcnt(0)
	v_or_b32_e32 v4, s19, v6
	v_cmp_ne_u64_e32 vcc, 0, v[3:4]
	s_and_saveexec_b64 s[0:1], vcc
	s_xor_b64 s[20:21], exec, s[0:1]
	s_cbranch_execz .LBB0_4
; %bb.3:                                ;   in Loop: Header=BB0_2 Depth=1
	v_cvt_f32_u32_e32 v4, s18
	v_cvt_f32_u32_e32 v7, s19
	s_sub_u32 s0, 0, s18
	s_subb_u32 s1, 0, s19
	v_mac_f32_e32 v4, 0x4f800000, v7
	v_rcp_f32_e32 v4, v4
	v_mul_f32_e32 v4, 0x5f7ffffc, v4
	v_mul_f32_e32 v7, 0x2f800000, v4
	v_trunc_f32_e32 v7, v7
	v_mac_f32_e32 v4, 0xcf800000, v7
	v_cvt_u32_f32_e32 v7, v7
	v_cvt_u32_f32_e32 v4, v4
	v_mul_lo_u32 v8, s0, v7
	v_mul_hi_u32 v9, s0, v4
	v_mul_lo_u32 v11, s1, v4
	v_mul_lo_u32 v10, s0, v4
	v_add_u32_e32 v8, v9, v8
	v_add_u32_e32 v8, v8, v11
	v_mul_hi_u32 v9, v4, v10
	v_mul_lo_u32 v11, v4, v8
	v_mul_hi_u32 v13, v4, v8
	v_mul_hi_u32 v12, v7, v10
	v_mul_lo_u32 v10, v7, v10
	v_mul_hi_u32 v14, v7, v8
	v_add_co_u32_e32 v9, vcc, v9, v11
	v_addc_co_u32_e32 v11, vcc, 0, v13, vcc
	v_mul_lo_u32 v8, v7, v8
	v_add_co_u32_e32 v9, vcc, v9, v10
	v_addc_co_u32_e32 v9, vcc, v11, v12, vcc
	v_addc_co_u32_e32 v10, vcc, 0, v14, vcc
	v_add_co_u32_e32 v8, vcc, v9, v8
	v_addc_co_u32_e32 v9, vcc, 0, v10, vcc
	v_add_co_u32_e32 v4, vcc, v4, v8
	v_addc_co_u32_e32 v7, vcc, v7, v9, vcc
	v_mul_lo_u32 v8, s0, v7
	v_mul_hi_u32 v9, s0, v4
	v_mul_lo_u32 v10, s1, v4
	v_mul_lo_u32 v11, s0, v4
	v_add_u32_e32 v8, v9, v8
	v_add_u32_e32 v8, v8, v10
	v_mul_lo_u32 v12, v4, v8
	v_mul_hi_u32 v13, v4, v11
	v_mul_hi_u32 v14, v4, v8
	;; [unrolled: 1-line block ×3, first 2 shown]
	v_mul_lo_u32 v11, v7, v11
	v_mul_hi_u32 v9, v7, v8
	v_add_co_u32_e32 v12, vcc, v13, v12
	v_addc_co_u32_e32 v13, vcc, 0, v14, vcc
	v_mul_lo_u32 v8, v7, v8
	v_add_co_u32_e32 v11, vcc, v12, v11
	v_addc_co_u32_e32 v10, vcc, v13, v10, vcc
	v_addc_co_u32_e32 v9, vcc, 0, v9, vcc
	v_add_co_u32_e32 v8, vcc, v10, v8
	v_addc_co_u32_e32 v9, vcc, 0, v9, vcc
	v_add_co_u32_e32 v4, vcc, v4, v8
	v_addc_co_u32_e32 v9, vcc, v7, v9, vcc
	v_mad_u64_u32 v[7:8], s[0:1], v5, v9, 0
	v_mul_hi_u32 v10, v5, v4
	v_add_co_u32_e32 v11, vcc, v10, v7
	v_addc_co_u32_e32 v12, vcc, 0, v8, vcc
	v_mad_u64_u32 v[7:8], s[0:1], v6, v4, 0
	v_mad_u64_u32 v[9:10], s[0:1], v6, v9, 0
	v_add_co_u32_e32 v4, vcc, v11, v7
	v_addc_co_u32_e32 v4, vcc, v12, v8, vcc
	v_addc_co_u32_e32 v7, vcc, 0, v10, vcc
	v_add_co_u32_e32 v4, vcc, v4, v9
	v_addc_co_u32_e32 v9, vcc, 0, v7, vcc
	v_mul_lo_u32 v10, s19, v4
	v_mul_lo_u32 v11, s18, v9
	v_mad_u64_u32 v[7:8], s[0:1], s18, v4, 0
	v_add3_u32 v8, v8, v11, v10
	v_sub_u32_e32 v10, v6, v8
	v_mov_b32_e32 v11, s19
	v_sub_co_u32_e32 v7, vcc, v5, v7
	v_subb_co_u32_e64 v10, s[0:1], v10, v11, vcc
	v_subrev_co_u32_e64 v11, s[0:1], s18, v7
	v_subbrev_co_u32_e64 v10, s[0:1], 0, v10, s[0:1]
	v_cmp_le_u32_e64 s[0:1], s19, v10
	v_cndmask_b32_e64 v12, 0, -1, s[0:1]
	v_cmp_le_u32_e64 s[0:1], s18, v11
	v_cndmask_b32_e64 v11, 0, -1, s[0:1]
	v_cmp_eq_u32_e64 s[0:1], s19, v10
	v_cndmask_b32_e64 v10, v12, v11, s[0:1]
	v_add_co_u32_e64 v11, s[0:1], 2, v4
	v_addc_co_u32_e64 v12, s[0:1], 0, v9, s[0:1]
	v_add_co_u32_e64 v13, s[0:1], 1, v4
	v_addc_co_u32_e64 v14, s[0:1], 0, v9, s[0:1]
	v_subb_co_u32_e32 v8, vcc, v6, v8, vcc
	v_cmp_ne_u32_e64 s[0:1], 0, v10
	v_cmp_le_u32_e32 vcc, s19, v8
	v_cndmask_b32_e64 v10, v14, v12, s[0:1]
	v_cndmask_b32_e64 v12, 0, -1, vcc
	v_cmp_le_u32_e32 vcc, s18, v7
	v_cndmask_b32_e64 v7, 0, -1, vcc
	v_cmp_eq_u32_e32 vcc, s19, v8
	v_cndmask_b32_e32 v7, v12, v7, vcc
	v_cmp_ne_u32_e32 vcc, 0, v7
	v_cndmask_b32_e64 v7, v13, v11, s[0:1]
	v_cndmask_b32_e32 v8, v9, v10, vcc
	v_cndmask_b32_e32 v7, v4, v7, vcc
.LBB0_4:                                ;   in Loop: Header=BB0_2 Depth=1
	s_andn2_saveexec_b64 s[0:1], s[20:21]
	s_cbranch_execz .LBB0_6
; %bb.5:                                ;   in Loop: Header=BB0_2 Depth=1
	v_cvt_f32_u32_e32 v4, s18
	s_sub_i32 s20, 0, s18
	v_rcp_iflag_f32_e32 v4, v4
	v_mul_f32_e32 v4, 0x4f7ffffe, v4
	v_cvt_u32_f32_e32 v4, v4
	v_mul_lo_u32 v7, s20, v4
	v_mul_hi_u32 v7, v4, v7
	v_add_u32_e32 v4, v4, v7
	v_mul_hi_u32 v4, v5, v4
	v_mul_lo_u32 v7, v4, s18
	v_add_u32_e32 v8, 1, v4
	v_sub_u32_e32 v7, v5, v7
	v_subrev_u32_e32 v9, s18, v7
	v_cmp_le_u32_e32 vcc, s18, v7
	v_cndmask_b32_e32 v7, v7, v9, vcc
	v_cndmask_b32_e32 v4, v4, v8, vcc
	v_add_u32_e32 v8, 1, v4
	v_cmp_le_u32_e32 vcc, s18, v7
	v_cndmask_b32_e32 v7, v4, v8, vcc
	v_mov_b32_e32 v8, v3
.LBB0_6:                                ;   in Loop: Header=BB0_2 Depth=1
	s_or_b64 exec, exec, s[0:1]
	v_mul_lo_u32 v4, v8, s18
	v_mul_lo_u32 v11, v7, s19
	v_mad_u64_u32 v[9:10], s[0:1], v7, s18, 0
	s_load_dwordx2 s[0:1], s[6:7], 0x0
	s_add_u32 s16, s16, 1
	v_add3_u32 v4, v10, v11, v4
	v_sub_co_u32_e32 v5, vcc, v5, v9
	v_subb_co_u32_e32 v4, vcc, v6, v4, vcc
	s_waitcnt lgkmcnt(0)
	v_mul_lo_u32 v4, s0, v4
	v_mul_lo_u32 v6, s1, v5
	v_mad_u64_u32 v[1:2], s[0:1], s0, v5, v[1:2]
	s_addc_u32 s17, s17, 0
	s_add_u32 s6, s6, 8
	v_add3_u32 v2, v6, v2, v4
	v_mov_b32_e32 v4, s10
	v_mov_b32_e32 v5, s11
	s_addc_u32 s7, s7, 0
	v_cmp_ge_u64_e32 vcc, s[16:17], v[4:5]
	s_add_u32 s14, s14, 8
	s_addc_u32 s15, s15, 0
	s_cbranch_vccnz .LBB0_9
; %bb.7:                                ;   in Loop: Header=BB0_2 Depth=1
	v_mov_b32_e32 v5, v7
	v_mov_b32_e32 v6, v8
	s_branch .LBB0_2
.LBB0_8:
	v_mov_b32_e32 v8, v6
	v_mov_b32_e32 v7, v5
.LBB0_9:
	s_lshl_b64 s[0:1], s[10:11], 3
	s_add_u32 s0, s12, s0
	s_addc_u32 s1, s13, s1
	s_load_dwordx2 s[6:7], s[0:1], 0x0
	s_load_dwordx2 s[10:11], s[4:5], 0x20
	s_waitcnt lgkmcnt(0)
	v_mad_u64_u32 v[1:2], s[0:1], s6, v7, v[1:2]
	v_mul_lo_u32 v3, s6, v8
	v_mul_lo_u32 v4, s7, v7
	s_mov_b32 s0, 0x1381382
	v_mul_hi_u32 v5, v0, s0
	v_cmp_gt_u64_e64 s[0:1], s[10:11], v[7:8]
	v_add3_u32 v2, v4, v2, v3
	v_lshlrev_b64 v[2:3], 2, v[1:2]
	v_mul_u32_u24_e32 v4, 0xd2, v5
	v_sub_u32_e32 v0, v0, v4
	s_and_saveexec_b64 s[4:5], s[0:1]
	s_cbranch_execz .LBB0_13
; %bb.10:
	v_mov_b32_e32 v1, 0
	v_mov_b32_e32 v4, s3
	v_add_co_u32_e32 v5, vcc, s2, v2
	v_lshlrev_b64 v[6:7], 2, v[0:1]
	v_addc_co_u32_e32 v4, vcc, v4, v3, vcc
	v_add_co_u32_e32 v6, vcc, v5, v6
	v_addc_co_u32_e32 v7, vcc, v4, v7, vcc
	global_load_dword v8, v[6:7], off
	global_load_dword v9, v[6:7], off offset:840
	global_load_dword v10, v[6:7], off offset:1680
	global_load_dword v11, v[6:7], off offset:2520
	global_load_dword v12, v[6:7], off offset:3360
	s_movk_i32 s6, 0xd1
	v_lshl_add_u32 v6, v0, 2, 0
	v_cmp_eq_u32_e32 vcc, s6, v0
	v_add_u32_e32 v7, 0x600, v6
	s_waitcnt vmcnt(3)
	ds_write2_b32 v6, v8, v9 offset1:210
	s_waitcnt vmcnt(1)
	ds_write2_b32 v7, v10, v11 offset0:36 offset1:246
	s_waitcnt vmcnt(0)
	ds_write_b32 v6, v12 offset:3360
	s_and_saveexec_b64 s[6:7], vcc
	s_cbranch_execz .LBB0_12
; %bb.11:
	v_add_co_u32_e32 v5, vcc, 0x1000, v5
	v_addc_co_u32_e32 v6, vcc, 0, v4, vcc
	global_load_dword v0, v[5:6], off offset:104
	s_waitcnt vmcnt(0)
	ds_write_b32 v1, v0 offset:4200
	v_mov_b32_e32 v0, 0xd1
.LBB0_12:
	s_or_b64 exec, exec, s[6:7]
.LBB0_13:
	s_or_b64 exec, exec, s[4:5]
	v_lshlrev_b32_e32 v6, 2, v0
	v_add_u32_e32 v10, 0, v6
	s_waitcnt lgkmcnt(0)
	s_barrier
	v_sub_u32_e32 v7, 0, v6
	ds_read_u16 v1, v10
	ds_read_u16 v4, v7 offset:4200
	s_add_u32 s6, s8, 0x1060
	s_addc_u32 s7, s9, 0
	v_cmp_ne_u32_e32 vcc, 0, v0
	s_waitcnt lgkmcnt(0)
	v_add_f16_e32 v9, v4, v1
	v_sub_f16_e32 v8, v1, v4
                                        ; implicit-def: $vgpr4_vgpr5
	s_and_saveexec_b64 s[4:5], vcc
	s_xor_b64 s[4:5], exec, s[4:5]
	s_cbranch_execz .LBB0_15
; %bb.14:
	v_mov_b32_e32 v1, 0
	v_lshlrev_b64 v[4:5], 2, v[0:1]
	v_mov_b32_e32 v11, s7
	v_add_co_u32_e32 v4, vcc, s6, v4
	v_addc_co_u32_e32 v5, vcc, v11, v5, vcc
	global_load_dword v4, v[4:5], off
	ds_read_u16 v5, v7 offset:4202
	ds_read_u16 v11, v10 offset:2
	s_waitcnt lgkmcnt(0)
	v_add_f16_e32 v12, v5, v11
	v_sub_f16_e32 v5, v11, v5
	s_waitcnt vmcnt(0)
	v_lshrrev_b32_e32 v11, 16, v4
	v_fma_f16 v13, v8, v11, v9
	v_fma_f16 v14, v12, v11, v5
	v_fma_f16 v9, -v8, v11, v9
	v_fma_f16 v5, v12, v11, -v5
	v_fma_f16 v11, -v4, v12, v13
	v_fma_f16 v13, v8, v4, v14
	v_fma_f16 v9, v4, v12, v9
	;; [unrolled: 1-line block ×3, first 2 shown]
	v_pack_b32_f16 v5, v11, v13
	v_pack_b32_f16 v4, v9, v4
	ds_write_b32 v10, v5
	ds_write_b32 v7, v4 offset:4200
	v_mov_b32_e32 v5, v1
	v_mov_b32_e32 v4, v0
                                        ; implicit-def: $vgpr9
                                        ; implicit-def: $vgpr8
.LBB0_15:
	s_andn2_saveexec_b64 s[4:5], s[4:5]
	s_cbranch_execz .LBB0_17
; %bb.16:
	v_pack_b32_f16 v1, v9, v8
	ds_write_b32 v10, v1
	v_mov_b32_e32 v1, 0
	ds_read_b32 v4, v1 offset:2100
	s_mov_b32 s10, 0xc0004000
	s_waitcnt lgkmcnt(0)
	v_pk_mul_f16 v8, v4, s10
	v_mov_b32_e32 v4, 0
	v_mov_b32_e32 v5, 0
	ds_write_b32 v1, v8 offset:2100
.LBB0_17:
	s_or_b64 exec, exec, s[4:5]
	v_lshlrev_b64 v[4:5], 2, v[4:5]
	v_mov_b32_e32 v1, s7
	v_add_co_u32_e32 v4, vcc, s6, v4
	v_addc_co_u32_e32 v5, vcc, v1, v5, vcc
	global_load_dword v1, v[4:5], off offset:840
	ds_read_b32 v8, v10 offset:840
	ds_read_b32 v9, v7 offset:3360
	s_movk_i32 s4, 0x69
	v_cmp_gt_u32_e32 vcc, s4, v0
	s_waitcnt lgkmcnt(0)
	v_add_f16_e32 v11, v8, v9
	v_add_f16_sdwa v12, v9, v8 dst_sel:DWORD dst_unused:UNUSED_PAD src0_sel:WORD_1 src1_sel:WORD_1
	v_sub_f16_e32 v13, v8, v9
	v_sub_f16_sdwa v8, v8, v9 dst_sel:DWORD dst_unused:UNUSED_PAD src0_sel:WORD_1 src1_sel:WORD_1
	s_waitcnt vmcnt(0)
	v_lshrrev_b32_e32 v9, 16, v1
	v_fma_f16 v14, v13, v9, v11
	v_fma_f16 v15, v12, v9, v8
	v_fma_f16 v11, -v13, v9, v11
	v_fma_f16 v8, v12, v9, -v8
	v_fma_f16 v9, -v1, v12, v14
	v_fma_f16 v14, v13, v1, v15
	v_fma_f16 v11, v1, v12, v11
	;; [unrolled: 1-line block ×3, first 2 shown]
	v_pack_b32_f16 v8, v9, v14
	v_pack_b32_f16 v1, v11, v1
	ds_write_b32 v10, v8 offset:840
	ds_write_b32 v7, v1 offset:3360
	s_and_saveexec_b64 s[4:5], vcc
	s_cbranch_execz .LBB0_19
; %bb.18:
	global_load_dword v1, v[4:5], off offset:1680
	ds_read_b32 v4, v10 offset:1680
	ds_read_b32 v5, v7 offset:2520
	s_waitcnt lgkmcnt(0)
	v_add_f16_e32 v8, v4, v5
	v_add_f16_sdwa v9, v5, v4 dst_sel:DWORD dst_unused:UNUSED_PAD src0_sel:WORD_1 src1_sel:WORD_1
	v_sub_f16_e32 v11, v4, v5
	v_sub_f16_sdwa v4, v4, v5 dst_sel:DWORD dst_unused:UNUSED_PAD src0_sel:WORD_1 src1_sel:WORD_1
	s_waitcnt vmcnt(0)
	v_lshrrev_b32_e32 v5, 16, v1
	v_fma_f16 v12, v11, v5, v8
	v_fma_f16 v13, v9, v5, v4
	v_fma_f16 v8, -v11, v5, v8
	v_fma_f16 v4, v9, v5, -v4
	v_fma_f16 v5, -v1, v9, v12
	v_fma_f16 v12, v11, v1, v13
	v_fma_f16 v8, v1, v9, v8
	;; [unrolled: 1-line block ×3, first 2 shown]
	v_pack_b32_f16 v4, v5, v12
	v_pack_b32_f16 v1, v8, v1
	ds_write_b32 v10, v4 offset:1680
	ds_write_b32 v7, v1 offset:2520
.LBB0_19:
	s_or_b64 exec, exec, s[4:5]
	v_add_u32_e32 v1, 0x600, v10
	s_waitcnt lgkmcnt(0)
	s_barrier
	s_barrier
	ds_read2_b32 v[8:9], v1 offset0:36 offset1:141
	v_add_u32_e32 v1, 0xb00, v10
	ds_read2_b32 v[11:12], v1 offset0:31 offset1:241
	ds_read2_b32 v[13:14], v10 offset1:210
	v_add_u32_e32 v7, 0xd2, v0
	v_add_u32_e32 v4, v10, v6
	s_waitcnt lgkmcnt(0)
	v_pk_add_f16 v1, v8, v12 neg_lo:[0,1] neg_hi:[0,1]
	v_pk_add_f16 v9, v13, v9 neg_lo:[0,1] neg_hi:[0,1]
	v_pk_fma_f16 v5, v8, 2.0, v1 op_sel_hi:[1,0,1] neg_lo:[0,0,1] neg_hi:[0,0,1]
	v_pk_fma_f16 v12, v13, 2.0, v9 op_sel_hi:[1,0,1] neg_lo:[0,0,1] neg_hi:[0,0,1]
	v_pk_add_f16 v8, v14, v11 neg_lo:[0,1] neg_hi:[0,1]
	v_lshl_add_u32 v13, v7, 3, 0
	v_pk_fma_f16 v11, v14, 2.0, v8 op_sel_hi:[1,0,1] neg_lo:[0,0,1] neg_hi:[0,0,1]
	s_barrier
	ds_write2_b32 v4, v12, v9 offset1:1
	ds_write2_b32 v13, v11, v8 offset1:1
	s_and_saveexec_b64 s[4:5], vcc
	s_cbranch_execz .LBB0_21
; %bb.20:
	v_lshl_add_u32 v9, v0, 3, 0
	v_add_u32_e32 v9, 0xd20, v9
	ds_write2_b32 v9, v5, v1 offset1:1
.LBB0_21:
	s_or_b64 exec, exec, s[4:5]
	s_waitcnt lgkmcnt(0)
	s_barrier
	ds_read_b32 v11, v10
	ds_read_b32 v14, v10 offset:1400
	ds_read_b32 v13, v10 offset:2800
	s_movk_i32 s4, 0x8c
	v_cmp_gt_u32_e32 vcc, s4, v0
	v_lshrrev_b32_e32 v15, 16, v5
	v_lshrrev_b32_e32 v16, 16, v1
	;; [unrolled: 1-line block ×3, first 2 shown]
	s_and_saveexec_b64 s[4:5], vcc
	s_cbranch_execz .LBB0_23
; %bb.22:
	ds_read_b32 v5, v10 offset:2240
	ds_read_b32 v1, v10 offset:3640
	;; [unrolled: 1-line block ×3, first 2 shown]
	s_waitcnt lgkmcnt(2)
	v_lshrrev_b32_e32 v15, 16, v5
	s_waitcnt lgkmcnt(1)
	v_lshrrev_b32_e32 v16, 16, v1
	;; [unrolled: 2-line block ×3, first 2 shown]
.LBB0_23:
	s_or_b64 exec, exec, s[4:5]
	v_and_b32_e32 v12, 1, v0
	v_lshlrev_b32_e32 v17, 3, v12
	global_load_dwordx2 v[17:18], v17, s[8:9]
	s_waitcnt lgkmcnt(1)
	v_lshrrev_b32_e32 v19, 16, v14
	s_waitcnt lgkmcnt(0)
	v_lshrrev_b32_e32 v20, 16, v13
	v_lshrrev_b32_e32 v21, 16, v11
	;; [unrolled: 1-line block ×3, first 2 shown]
	s_movk_i32 s4, 0x3aee
	s_mov_b32 s5, 0xbaee
	v_mul_u32_u24_e32 v22, 6, v22
	v_or_b32_e32 v22, v22, v12
	v_lshl_add_u32 v22, v22, 2, 0
	s_waitcnt vmcnt(0)
	s_barrier
	v_mul_f16_sdwa v23, v17, v19 dst_sel:DWORD dst_unused:UNUSED_PAD src0_sel:WORD_1 src1_sel:DWORD
	v_mul_f16_sdwa v24, v17, v14 dst_sel:DWORD dst_unused:UNUSED_PAD src0_sel:WORD_1 src1_sel:DWORD
	;; [unrolled: 1-line block ×4, first 2 shown]
	v_mul_f16_sdwa v27, v15, v17 dst_sel:DWORD dst_unused:UNUSED_PAD src0_sel:DWORD src1_sel:WORD_1
	v_mul_f16_sdwa v28, v5, v17 dst_sel:DWORD dst_unused:UNUSED_PAD src0_sel:DWORD src1_sel:WORD_1
	;; [unrolled: 1-line block ×4, first 2 shown]
	v_fma_f16 v23, v17, v14, -v23
	v_fma_f16 v19, v17, v19, v24
	v_fma_f16 v24, v18, v13, -v25
	v_fma_f16 v20, v18, v20, v26
	;; [unrolled: 2-line block ×4, first 2 shown]
	v_add_f16_e32 v5, v23, v24
	v_sub_f16_e32 v25, v19, v20
	v_add_f16_e32 v26, v19, v21
	v_add_f16_e32 v19, v19, v20
	v_add_f16_e32 v1, v23, v11
	v_sub_f16_e32 v23, v23, v24
	v_add_f16_e32 v27, v13, v14
	v_add_f16_e32 v28, v15, v16
	v_fma_f16 v5, v5, -0.5, v11
	v_fma_f16 v21, v19, -0.5, v21
	v_sub_f16_e32 v17, v15, v16
	v_sub_f16_e32 v18, v13, v14
	v_add_f16_e32 v1, v1, v24
	v_add_f16_e32 v20, v26, v20
	v_fma_f16 v11, v27, -0.5, v8
	v_fma_f16 v19, v28, -0.5, v9
	v_fma_f16 v24, v25, s4, v5
	v_fma_f16 v26, v23, s5, v21
	;; [unrolled: 1-line block ×4, first 2 shown]
	v_pack_b32_f16 v20, v1, v20
	v_fma_f16 v5, v17, s5, v11
	v_fma_f16 v1, v18, s4, v19
	v_pack_b32_f16 v23, v24, v26
	v_pack_b32_f16 v21, v25, v21
	ds_write2_b32 v22, v20, v23 offset1:2
	ds_write_b32 v22, v21 offset:16
	s_and_saveexec_b64 s[4:5], vcc
	s_cbranch_execz .LBB0_25
; %bb.24:
	v_lshrrev_b32_e32 v7, 1, v7
	v_mul_f16_e32 v17, 0x3aee, v17
	v_mul_f16_e32 v18, 0x3aee, v18
	v_add_f16_e32 v9, v9, v15
	v_add_f16_e32 v8, v8, v13
	v_mul_u32_u24_e32 v7, 6, v7
	v_sub_f16_e32 v18, v19, v18
	v_add_f16_e32 v11, v17, v11
	v_add_f16_e32 v9, v9, v16
	;; [unrolled: 1-line block ×3, first 2 shown]
	v_or_b32_e32 v7, v7, v12
	v_lshl_add_u32 v7, v7, 2, 0
	v_pack_b32_f16 v8, v8, v9
	v_pack_b32_f16 v9, v11, v18
	s_mov_b32 s6, 0x5040100
	ds_write2_b32 v7, v8, v9 offset1:2
	v_perm_b32 v8, v1, v5, s6
	ds_write_b32 v7, v8 offset:16
.LBB0_25:
	s_or_b64 exec, exec, s[4:5]
	s_movk_i32 s4, 0xab
	v_mul_lo_u16_sdwa v7, v0, s4 dst_sel:DWORD dst_unused:UNUSED_PAD src0_sel:BYTE_0 src1_sel:DWORD
	v_lshrrev_b16_e32 v15, 10, v7
	v_mul_lo_u16_e32 v7, 6, v15
	v_sub_u16_e32 v16, v0, v7
	v_mov_b32_e32 v17, 4
	v_lshlrev_b32_sdwa v7, v17, v16 dst_sel:DWORD dst_unused:UNUSED_PAD src0_sel:DWORD src1_sel:BYTE_0
	s_waitcnt lgkmcnt(0)
	s_barrier
	global_load_dwordx4 v[11:14], v7, s[8:9] offset:16
	v_sub_u32_e32 v4, v4, v6
	ds_read2_b32 v[6:7], v10 offset1:210
	v_add_u32_e32 v18, 0x980, v10
	ds_read_b32 v20, v4 offset:1680
	ds_read2_b32 v[8:9], v18 offset0:22 offset1:232
	ds_read_u16 v21, v10 offset:2
	s_movk_i32 s6, 0x3b9c
	s_mov_b32 s5, 0xbb9c
	s_waitcnt lgkmcnt(2)
	v_lshrrev_b32_e32 v23, 16, v20
	v_lshrrev_b32_e32 v22, 16, v7
	s_waitcnt lgkmcnt(1)
	v_lshrrev_b32_e32 v24, 16, v8
	v_lshrrev_b32_e32 v25, 16, v9
	s_movk_i32 s4, 0x38b4
	s_mov_b32 s7, 0xb8b4
	s_movk_i32 s10, 0x34f2
	v_mov_b32_e32 v19, 2
	v_lshlrev_b32_sdwa v16, v19, v16 dst_sel:DWORD dst_unused:UNUSED_PAD src0_sel:DWORD src1_sel:BYTE_0
	v_mul_u32_u24_e32 v15, 0x78, v15
	v_add3_u32 v15, 0, v15, v16
	s_waitcnt vmcnt(0) lgkmcnt(0)
	s_barrier
	s_movk_i32 s11, 0x89
	v_mul_f16_sdwa v26, v12, v23 dst_sel:DWORD dst_unused:UNUSED_PAD src0_sel:WORD_1 src1_sel:DWORD
	v_mul_f16_sdwa v27, v12, v20 dst_sel:DWORD dst_unused:UNUSED_PAD src0_sel:WORD_1 src1_sel:DWORD
	;; [unrolled: 1-line block ×4, first 2 shown]
	v_fma_f16 v20, v12, v20, -v26
	v_mul_f16_sdwa v26, v11, v22 dst_sel:DWORD dst_unused:UNUSED_PAD src0_sel:WORD_1 src1_sel:DWORD
	v_mul_f16_sdwa v29, v13, v8 dst_sel:DWORD dst_unused:UNUSED_PAD src0_sel:WORD_1 src1_sel:DWORD
	;; [unrolled: 1-line block ×4, first 2 shown]
	v_fma_f16 v8, v13, v8, -v28
	v_fma_f16 v9, v14, v9, -v30
	;; [unrolled: 1-line block ×3, first 2 shown]
	v_fma_f16 v12, v12, v23, v27
	v_fma_f16 v13, v13, v24, v29
	;; [unrolled: 1-line block ×4, first 2 shown]
	v_add_f16_e32 v23, v20, v8
	v_sub_f16_e32 v24, v7, v20
	v_add_f16_e32 v25, v7, v9
	v_sub_f16_e32 v26, v9, v8
	;; [unrolled: 2-line block ×3, first 2 shown]
	v_sub_f16_e32 v28, v8, v9
	v_sub_f16_e32 v29, v22, v12
	;; [unrolled: 1-line block ×3, first 2 shown]
	v_fma_f16 v23, v23, -0.5, v6
	v_fma_f16 v6, v25, -0.5, v6
	v_add_f16_e32 v25, v12, v13
	v_add_f16_e32 v24, v24, v26
	;; [unrolled: 1-line block ×3, first 2 shown]
	v_sub_f16_e32 v7, v7, v9
	v_add_f16_e32 v32, v22, v14
	v_add_f16_e32 v27, v27, v28
	v_sub_f16_e32 v28, v22, v14
	v_sub_f16_e32 v22, v12, v22
	v_add_f16_e32 v29, v29, v30
	v_sub_f16_e32 v30, v12, v13
	v_add_f16_e32 v11, v11, v20
	v_fma_f16 v25, v25, -0.5, v21
	v_add_f16_e32 v12, v26, v12
	v_sub_f16_e32 v31, v20, v8
	v_sub_f16_e32 v20, v13, v14
	v_fma_f16 v21, v32, -0.5, v21
	v_add_f16_e32 v8, v11, v8
	v_fma_f16 v11, v28, s6, v23
	v_add_f16_e32 v12, v12, v13
	v_fma_f16 v13, v7, s5, v25
	v_fma_f16 v23, v28, s5, v23
	;; [unrolled: 1-line block ×4, first 2 shown]
	v_add_f16_e32 v8, v8, v9
	v_fma_f16 v9, v30, s4, v11
	v_fma_f16 v13, v31, s7, v13
	v_add_f16_e32 v20, v22, v20
	v_fma_f16 v22, v31, s6, v21
	v_fma_f16 v21, v31, s5, v21
	;; [unrolled: 1-line block ×6, first 2 shown]
	v_add_f16_e32 v12, v12, v14
	v_fma_f16 v9, v24, s10, v9
	v_fma_f16 v13, v29, s10, v13
	;; [unrolled: 1-line block ×9, first 2 shown]
	v_pack_b32_f16 v8, v8, v12
	v_pack_b32_f16 v9, v9, v13
	v_fma_f16 v11, v24, s10, v11
	v_fma_f16 v14, v29, s10, v14
	ds_write2_b32 v15, v8, v9 offset1:6
	v_pack_b32_f16 v8, v23, v22
	v_pack_b32_f16 v6, v6, v7
	ds_write2_b32 v15, v8, v6 offset0:12 offset1:18
	v_pack_b32_f16 v6, v11, v14
	ds_write_b32 v15, v6 offset:96
	v_mul_lo_u16_sdwa v6, v0, s11 dst_sel:DWORD dst_unused:UNUSED_PAD src0_sel:BYTE_0 src1_sel:DWORD
	v_lshrrev_b16_e32 v16, 12, v6
	v_mul_lo_u16_e32 v6, 30, v16
	v_sub_u16_e32 v15, v0, v6
	v_lshlrev_b32_sdwa v6, v17, v15 dst_sel:DWORD dst_unused:UNUSED_PAD src0_sel:DWORD src1_sel:BYTE_0
	s_waitcnt lgkmcnt(0)
	s_barrier
	global_load_dwordx4 v[6:9], v6, s[8:9] offset:112
	ds_read2_b32 v[11:12], v10 offset1:210
	ds_read_b32 v4, v4 offset:1680
	ds_read2_b32 v[13:14], v18 offset0:22 offset1:232
	v_lshlrev_b32_sdwa v17, v19, v15 dst_sel:DWORD dst_unused:UNUSED_PAD src0_sel:DWORD src1_sel:BYTE_0
	ds_read_u16 v15, v10 offset:2
	s_waitcnt lgkmcnt(3)
	v_lshrrev_b32_e32 v18, 16, v12
	s_waitcnt lgkmcnt(2)
	v_lshrrev_b32_e32 v19, 16, v4
	;; [unrolled: 2-line block ×3, first 2 shown]
	v_lshrrev_b32_e32 v21, 16, v14
	v_mul_u32_u24_e32 v16, 0x258, v16
	v_add3_u32 v16, 0, v16, v17
	s_waitcnt vmcnt(0) lgkmcnt(0)
	s_barrier
	v_mul_f16_sdwa v22, v6, v18 dst_sel:DWORD dst_unused:UNUSED_PAD src0_sel:WORD_1 src1_sel:DWORD
	v_mul_f16_sdwa v23, v6, v12 dst_sel:DWORD dst_unused:UNUSED_PAD src0_sel:WORD_1 src1_sel:DWORD
	;; [unrolled: 1-line block ×8, first 2 shown]
	v_fma_f16 v18, v6, v18, v23
	v_fma_f16 v23, v7, v4, -v24
	v_fma_f16 v12, v6, v12, -v22
	;; [unrolled: 1-line block ×4, first 2 shown]
	v_fma_f16 v19, v7, v19, v25
	v_fma_f16 v20, v8, v20, v27
	;; [unrolled: 1-line block ×3, first 2 shown]
	v_add_f16_e32 v6, v23, v13
	v_add_f16_e32 v24, v12, v14
	;; [unrolled: 1-line block ×3, first 2 shown]
	v_sub_f16_e32 v7, v18, v21
	v_sub_f16_e32 v8, v19, v20
	;; [unrolled: 1-line block ×6, first 2 shown]
	v_add_f16_e32 v27, v15, v18
	v_fma_f16 v6, v6, -0.5, v11
	v_fma_f16 v11, v24, -0.5, v11
	v_add_f16_e32 v9, v9, v22
	v_add_f16_e32 v22, v25, v26
	;; [unrolled: 1-line block ×4, first 2 shown]
	v_fma_f16 v25, v7, s6, v6
	v_fma_f16 v6, v7, s5, v6
	;; [unrolled: 1-line block ×4, first 2 shown]
	v_add_f16_e32 v28, v19, v20
	v_add_f16_e32 v4, v4, v13
	;; [unrolled: 1-line block ×3, first 2 shown]
	v_fma_f16 v25, v8, s4, v25
	v_fma_f16 v8, v8, s7, v6
	;; [unrolled: 1-line block ×4, first 2 shown]
	v_add_f16_e32 v6, v4, v14
	v_add_f16_e32 v11, v24, v21
	v_fma_f16 v4, v9, s10, v8
	v_fma_f16 v7, v9, s10, v25
	;; [unrolled: 1-line block ×4, first 2 shown]
	v_fma_f16 v22, v28, -0.5, v15
	v_sub_f16_e32 v24, v12, v14
	v_sub_f16_e32 v23, v23, v13
	;; [unrolled: 1-line block ×4, first 2 shown]
	v_fma_f16 v12, v24, s5, v22
	v_add_f16_e32 v13, v13, v14
	v_fma_f16 v14, v24, s6, v22
	v_fma_f16 v12, v23, s7, v12
	;; [unrolled: 1-line block ×5, first 2 shown]
	v_add_f16_e32 v14, v18, v21
	v_fma_f16 v15, v14, -0.5, v15
	v_fma_f16 v14, v23, s6, v15
	v_sub_f16_e32 v18, v19, v18
	v_sub_f16_e32 v19, v20, v21
	v_fma_f16 v15, v23, s5, v15
	v_fma_f16 v14, v24, s7, v14
	v_add_f16_e32 v18, v18, v19
	v_fma_f16 v15, v24, s4, v15
	v_fma_f16 v14, v18, s10, v14
	;; [unrolled: 1-line block ×3, first 2 shown]
	v_pack_b32_f16 v17, v6, v11
	v_pack_b32_f16 v18, v7, v12
	ds_write2_b32 v16, v17, v18 offset1:30
	v_pack_b32_f16 v17, v8, v14
	v_pack_b32_f16 v18, v9, v15
	s_movk_i32 s4, 0x96
	ds_write2_b32 v16, v17, v18 offset0:60 offset1:90
	v_pack_b32_f16 v17, v4, v13
	v_cmp_gt_u32_e32 vcc, s4, v0
	ds_write_b32 v16, v17 offset:480
	s_waitcnt lgkmcnt(0)
	s_barrier
	s_waitcnt lgkmcnt(0)
                                        ; implicit-def: $vgpr17
                                        ; implicit-def: $vgpr16
	s_and_saveexec_b64 s[4:5], vcc
	s_cbranch_execz .LBB0_27
; %bb.26:
	v_add_u32_e32 v1, 0x400, v10
	v_add_u32_e32 v4, 0x800, v10
	ds_read2_b32 v[6:7], v10 offset1:150
	ds_read2_b32 v[8:9], v1 offset0:44 offset1:194
	ds_read2_b32 v[4:5], v4 offset0:88 offset1:238
	ds_read_b32 v16, v10 offset:3600
	s_waitcnt lgkmcnt(3)
	v_lshrrev_b32_e32 v11, 16, v6
	v_lshrrev_b32_e32 v12, 16, v7
	s_waitcnt lgkmcnt(2)
	v_lshrrev_b32_e32 v14, 16, v8
	v_lshrrev_b32_e32 v15, 16, v9
	;; [unrolled: 3-line block ×3, first 2 shown]
	s_waitcnt lgkmcnt(0)
	v_lshrrev_b32_e32 v17, 16, v16
.LBB0_27:
	s_or_b64 exec, exec, s[4:5]
	s_barrier
	s_and_saveexec_b64 s[4:5], vcc
	s_cbranch_execz .LBB0_29
; %bb.28:
	v_add_u32_e32 v18, 0xffffff6a, v0
	v_cndmask_b32_e32 v18, v18, v0, vcc
	v_mul_i32_i24_e32 v18, 6, v18
	v_mov_b32_e32 v19, 0
	v_lshlrev_b64 v[18:19], 2, v[18:19]
	v_mov_b32_e32 v20, s9
	v_add_co_u32_e32 v22, vcc, s8, v18
	v_addc_co_u32_e32 v23, vcc, v20, v19, vcc
	global_load_dwordx4 v[18:21], v[22:23], off offset:592
	global_load_dwordx2 v[24:25], v[22:23], off offset:608
	s_movk_i32 s6, 0x3574
	s_movk_i32 s8, 0x2b26
	s_mov_b32 s9, 0xbcab
	s_movk_i32 s10, 0x3b00
	s_mov_b32 s11, 0xb574
	s_movk_i32 s7, 0x370e
	s_waitcnt vmcnt(1)
	v_mul_f16_sdwa v22, v13, v21 dst_sel:DWORD dst_unused:UNUSED_PAD src0_sel:DWORD src1_sel:WORD_1
	s_waitcnt vmcnt(0)
	v_mul_f16_sdwa v27, v1, v24 dst_sel:DWORD dst_unused:UNUSED_PAD src0_sel:DWORD src1_sel:WORD_1
	v_mul_f16_sdwa v23, v15, v20 dst_sel:DWORD dst_unused:UNUSED_PAD src0_sel:DWORD src1_sel:WORD_1
	;; [unrolled: 1-line block ×7, first 2 shown]
	v_fma_f16 v4, v4, v21, -v22
	v_fma_f16 v5, v5, v24, -v27
	v_mul_f16_sdwa v22, v16, v25 dst_sel:DWORD dst_unused:UNUSED_PAD src0_sel:DWORD src1_sel:WORD_1
	v_mul_f16_sdwa v27, v7, v18 dst_sel:DWORD dst_unused:UNUSED_PAD src0_sel:DWORD src1_sel:WORD_1
	;; [unrolled: 1-line block ×3, first 2 shown]
	v_fma_f16 v9, v9, v20, -v23
	v_fma_f16 v8, v8, v19, -v26
	v_mul_f16_sdwa v23, v12, v18 dst_sel:DWORD dst_unused:UNUSED_PAD src0_sel:DWORD src1_sel:WORD_1
	v_fma_f16 v17, v17, v25, v22
	v_fma_f16 v12, v12, v18, v27
	;; [unrolled: 1-line block ×6, first 2 shown]
	v_fma_f16 v16, v16, v25, -v32
	v_fma_f16 v7, v7, v18, -v23
	v_sub_f16_e32 v19, v4, v9
	v_sub_f16_e32 v20, v8, v5
	v_add_f16_e32 v21, v12, v17
	v_add_f16_e32 v23, v14, v1
	;; [unrolled: 1-line block ×3, first 2 shown]
	v_sub_f16_e32 v9, v13, v15
	v_sub_f16_e32 v1, v14, v1
	;; [unrolled: 1-line block ×3, first 2 shown]
	v_add_f16_e32 v22, v15, v13
	v_add_f16_e32 v7, v7, v16
	;; [unrolled: 1-line block ×3, first 2 shown]
	v_sub_f16_e32 v8, v12, v17
	v_sub_f16_e32 v13, v19, v20
	v_add_f16_e32 v17, v23, v21
	v_sub_f16_e32 v27, v9, v1
	v_sub_f16_e32 v12, v18, v19
	v_add_f16_e32 v14, v19, v20
	v_sub_f16_e32 v15, v21, v22
	v_sub_f16_e32 v16, v22, v23
	;; [unrolled: 1-line block ×4, first 2 shown]
	v_add_f16_e32 v25, v5, v7
	v_sub_f16_e32 v26, v8, v9
	v_sub_f16_e32 v5, v5, v7
	v_mul_f16_e32 v7, 0xb846, v13
	v_add_f16_e32 v17, v22, v17
	v_mul_f16_e32 v22, 0xb846, v27
	v_sub_f16_e32 v20, v20, v18
	v_sub_f16_e32 v21, v23, v21
	v_add_f16_e32 v13, v14, v18
	v_mul_f16_e32 v14, 0x3a52, v15
	v_mul_f16_e32 v18, 0x3a52, v19
	v_add_f16_e32 v4, v4, v25
	v_fma_f16 v25, v12, s6, v7
	v_fma_f16 v27, v26, s6, v22
	s_mov_b32 s6, 0xb9e0
	v_add_f16_e32 v9, v9, v1
	v_mul_f16_e32 v15, 0x2b26, v16
	v_mul_f16_e32 v19, 0x2b26, v24
	;; [unrolled: 1-line block ×3, first 2 shown]
	v_fma_f16 v16, v16, s8, v14
	v_add_f16_e32 v11, v11, v17
	v_fma_f16 v24, v24, s8, v18
	v_add_f16_e32 v6, v6, v4
	v_fma_f16 v14, v21, s6, -v14
	v_sub_f16_e32 v1, v1, v8
	v_fma_f16 v18, v5, s6, -v18
	s_movk_i32 s6, 0x39e0
	v_add_f16_e32 v9, v9, v8
	v_fma_f16 v12, v12, s11, -v23
	v_fma_f16 v17, v17, s9, v11
	v_fma_f16 v4, v4, s9, v6
	v_mul_f16_e32 v8, 0x3b00, v1
	v_fma_f16 v1, v1, s10, -v22
	v_fma_f16 v5, v5, s6, -v19
	v_fma_f16 v23, v13, s7, v25
	v_fma_f16 v25, v9, s7, v27
	v_add_f16_e32 v16, v16, v17
	v_add_f16_e32 v24, v24, v4
	v_fma_f16 v12, v13, s7, v12
	v_add_f16_e32 v14, v14, v17
	v_fma_f16 v8, v26, s11, -v8
	v_add_f16_e32 v18, v18, v4
	v_fma_f16 v15, v21, s6, -v15
	v_fma_f16 v7, v20, s10, -v7
	v_fma_f16 v1, v9, s7, v1
	v_add_f16_e32 v4, v5, v4
	v_add_f16_e32 v26, v12, v14
	v_fma_f16 v8, v9, s7, v8
	v_add_f16_e32 v15, v15, v17
	v_fma_f16 v7, v13, s7, v7
	v_add_f16_e32 v5, v1, v4
	v_sub_f16_e32 v1, v4, v1
	v_sub_f16_e32 v4, v14, v12
	;; [unrolled: 1-line block ×3, first 2 shown]
	v_add_f16_e32 v12, v25, v24
	v_sub_f16_e32 v21, v18, v8
	v_sub_f16_e32 v13, v15, v7
	v_add_f16_e32 v7, v7, v15
	v_add_f16_e32 v8, v8, v18
	v_pack_b32_f16 v6, v6, v11
	v_pack_b32_f16 v9, v12, v9
	ds_write2_b32 v10, v6, v9 offset1:150
	v_pack_b32_f16 v4, v8, v4
	v_pack_b32_f16 v1, v1, v7
	v_add_u32_e32 v6, 0x400, v10
	v_add_f16_e32 v27, v23, v16
	v_sub_f16_e32 v28, v24, v25
	ds_write2_b32 v6, v4, v1 offset0:44 offset1:194
	v_pack_b32_f16 v1, v5, v13
	v_pack_b32_f16 v4, v21, v26
	v_add_u32_e32 v5, 0x800, v10
	ds_write2_b32 v5, v1, v4 offset0:88 offset1:238
	v_pack_b32_f16 v1, v28, v27
	ds_write_b32 v10, v1 offset:3600
.LBB0_29:
	s_or_b64 exec, exec, s[4:5]
	s_waitcnt lgkmcnt(0)
	s_barrier
	s_and_saveexec_b64 s[4:5], s[0:1]
	s_cbranch_execz .LBB0_31
; %bb.30:
	v_lshl_add_u32 v6, v0, 2, 0
	v_mov_b32_e32 v1, 0
	ds_read2_b32 v[4:5], v6 offset1:210
	v_mov_b32_e32 v7, s3
	v_add_co_u32_e32 v8, vcc, s2, v2
	v_addc_co_u32_e32 v7, vcc, v7, v3, vcc
	v_lshlrev_b64 v[2:3], 2, v[0:1]
	v_add_co_u32_e32 v2, vcc, v8, v2
	v_addc_co_u32_e32 v3, vcc, v7, v3, vcc
	s_waitcnt lgkmcnt(0)
	global_store_dword v[2:3], v4, off
	v_add_u32_e32 v2, 0xd2, v0
	v_mov_b32_e32 v3, v1
	v_lshlrev_b64 v[2:3], 2, v[2:3]
	v_add_u32_e32 v4, 0x600, v6
	v_add_co_u32_e32 v2, vcc, v8, v2
	v_addc_co_u32_e32 v3, vcc, v7, v3, vcc
	global_store_dword v[2:3], v5, off
	v_add_u32_e32 v2, 0x1a4, v0
	v_mov_b32_e32 v3, v1
	ds_read2_b32 v[4:5], v4 offset0:36 offset1:246
	v_lshlrev_b64 v[2:3], 2, v[2:3]
	v_add_co_u32_e32 v2, vcc, v8, v2
	v_addc_co_u32_e32 v3, vcc, v7, v3, vcc
	s_waitcnt lgkmcnt(0)
	global_store_dword v[2:3], v4, off
	v_add_u32_e32 v2, 0x276, v0
	v_mov_b32_e32 v3, v1
	v_lshlrev_b64 v[2:3], 2, v[2:3]
	v_add_u32_e32 v0, 0x348, v0
	v_add_co_u32_e32 v2, vcc, v8, v2
	v_addc_co_u32_e32 v3, vcc, v7, v3, vcc
	global_store_dword v[2:3], v5, off
	ds_read_b32 v2, v6 offset:3360
	v_lshlrev_b64 v[0:1], 2, v[0:1]
	v_add_co_u32_e32 v0, vcc, v8, v0
	v_addc_co_u32_e32 v1, vcc, v7, v1, vcc
	s_waitcnt lgkmcnt(0)
	global_store_dword v[0:1], v2, off
.LBB0_31:
	s_endpgm
	.section	.rodata,"a",@progbits
	.p2align	6, 0x0
	.amdhsa_kernel fft_rtc_fwd_len1050_factors_2_3_5_5_7_wgs_210_tpt_210_half_ip_CI_unitstride_sbrr_C2R_dirReg
		.amdhsa_group_segment_fixed_size 0
		.amdhsa_private_segment_fixed_size 0
		.amdhsa_kernarg_size 88
		.amdhsa_user_sgpr_count 6
		.amdhsa_user_sgpr_private_segment_buffer 1
		.amdhsa_user_sgpr_dispatch_ptr 0
		.amdhsa_user_sgpr_queue_ptr 0
		.amdhsa_user_sgpr_kernarg_segment_ptr 1
		.amdhsa_user_sgpr_dispatch_id 0
		.amdhsa_user_sgpr_flat_scratch_init 0
		.amdhsa_user_sgpr_private_segment_size 0
		.amdhsa_uses_dynamic_stack 0
		.amdhsa_system_sgpr_private_segment_wavefront_offset 0
		.amdhsa_system_sgpr_workgroup_id_x 1
		.amdhsa_system_sgpr_workgroup_id_y 0
		.amdhsa_system_sgpr_workgroup_id_z 0
		.amdhsa_system_sgpr_workgroup_info 0
		.amdhsa_system_vgpr_workitem_id 0
		.amdhsa_next_free_vgpr 33
		.amdhsa_next_free_sgpr 22
		.amdhsa_reserve_vcc 1
		.amdhsa_reserve_flat_scratch 0
		.amdhsa_float_round_mode_32 0
		.amdhsa_float_round_mode_16_64 0
		.amdhsa_float_denorm_mode_32 3
		.amdhsa_float_denorm_mode_16_64 3
		.amdhsa_dx10_clamp 1
		.amdhsa_ieee_mode 1
		.amdhsa_fp16_overflow 0
		.amdhsa_exception_fp_ieee_invalid_op 0
		.amdhsa_exception_fp_denorm_src 0
		.amdhsa_exception_fp_ieee_div_zero 0
		.amdhsa_exception_fp_ieee_overflow 0
		.amdhsa_exception_fp_ieee_underflow 0
		.amdhsa_exception_fp_ieee_inexact 0
		.amdhsa_exception_int_div_zero 0
	.end_amdhsa_kernel
	.text
.Lfunc_end0:
	.size	fft_rtc_fwd_len1050_factors_2_3_5_5_7_wgs_210_tpt_210_half_ip_CI_unitstride_sbrr_C2R_dirReg, .Lfunc_end0-fft_rtc_fwd_len1050_factors_2_3_5_5_7_wgs_210_tpt_210_half_ip_CI_unitstride_sbrr_C2R_dirReg
                                        ; -- End function
	.section	.AMDGPU.csdata,"",@progbits
; Kernel info:
; codeLenInByte = 5384
; NumSgprs: 26
; NumVgprs: 33
; ScratchSize: 0
; MemoryBound: 0
; FloatMode: 240
; IeeeMode: 1
; LDSByteSize: 0 bytes/workgroup (compile time only)
; SGPRBlocks: 3
; VGPRBlocks: 8
; NumSGPRsForWavesPerEU: 26
; NumVGPRsForWavesPerEU: 33
; Occupancy: 7
; WaveLimiterHint : 1
; COMPUTE_PGM_RSRC2:SCRATCH_EN: 0
; COMPUTE_PGM_RSRC2:USER_SGPR: 6
; COMPUTE_PGM_RSRC2:TRAP_HANDLER: 0
; COMPUTE_PGM_RSRC2:TGID_X_EN: 1
; COMPUTE_PGM_RSRC2:TGID_Y_EN: 0
; COMPUTE_PGM_RSRC2:TGID_Z_EN: 0
; COMPUTE_PGM_RSRC2:TIDIG_COMP_CNT: 0
	.type	__hip_cuid_5f71f50634d04fe3,@object ; @__hip_cuid_5f71f50634d04fe3
	.section	.bss,"aw",@nobits
	.globl	__hip_cuid_5f71f50634d04fe3
__hip_cuid_5f71f50634d04fe3:
	.byte	0                               ; 0x0
	.size	__hip_cuid_5f71f50634d04fe3, 1

	.ident	"AMD clang version 19.0.0git (https://github.com/RadeonOpenCompute/llvm-project roc-6.4.0 25133 c7fe45cf4b819c5991fe208aaa96edf142730f1d)"
	.section	".note.GNU-stack","",@progbits
	.addrsig
	.addrsig_sym __hip_cuid_5f71f50634d04fe3
	.amdgpu_metadata
---
amdhsa.kernels:
  - .args:
      - .actual_access:  read_only
        .address_space:  global
        .offset:         0
        .size:           8
        .value_kind:     global_buffer
      - .offset:         8
        .size:           8
        .value_kind:     by_value
      - .actual_access:  read_only
        .address_space:  global
        .offset:         16
        .size:           8
        .value_kind:     global_buffer
      - .actual_access:  read_only
        .address_space:  global
        .offset:         24
        .size:           8
        .value_kind:     global_buffer
      - .offset:         32
        .size:           8
        .value_kind:     by_value
      - .actual_access:  read_only
        .address_space:  global
        .offset:         40
        .size:           8
        .value_kind:     global_buffer
      - .actual_access:  read_only
        .address_space:  global
        .offset:         48
        .size:           8
        .value_kind:     global_buffer
      - .offset:         56
        .size:           4
        .value_kind:     by_value
      - .actual_access:  read_only
        .address_space:  global
        .offset:         64
        .size:           8
        .value_kind:     global_buffer
      - .actual_access:  read_only
        .address_space:  global
        .offset:         72
        .size:           8
        .value_kind:     global_buffer
      - .address_space:  global
        .offset:         80
        .size:           8
        .value_kind:     global_buffer
    .group_segment_fixed_size: 0
    .kernarg_segment_align: 8
    .kernarg_segment_size: 88
    .language:       OpenCL C
    .language_version:
      - 2
      - 0
    .max_flat_workgroup_size: 210
    .name:           fft_rtc_fwd_len1050_factors_2_3_5_5_7_wgs_210_tpt_210_half_ip_CI_unitstride_sbrr_C2R_dirReg
    .private_segment_fixed_size: 0
    .sgpr_count:     26
    .sgpr_spill_count: 0
    .symbol:         fft_rtc_fwd_len1050_factors_2_3_5_5_7_wgs_210_tpt_210_half_ip_CI_unitstride_sbrr_C2R_dirReg.kd
    .uniform_work_group_size: 1
    .uses_dynamic_stack: false
    .vgpr_count:     33
    .vgpr_spill_count: 0
    .wavefront_size: 64
amdhsa.target:   amdgcn-amd-amdhsa--gfx906
amdhsa.version:
  - 1
  - 2
...

	.end_amdgpu_metadata
